;; amdgpu-corpus repo=ROCm/rocFFT kind=compiled arch=gfx1030 opt=O3
	.text
	.amdgcn_target "amdgcn-amd-amdhsa--gfx1030"
	.amdhsa_code_object_version 6
	.protected	fft_rtc_back_len242_factors_11_2_11_wgs_110_tpt_22_dp_ip_CI_sbrr_dirReg ; -- Begin function fft_rtc_back_len242_factors_11_2_11_wgs_110_tpt_22_dp_ip_CI_sbrr_dirReg
	.globl	fft_rtc_back_len242_factors_11_2_11_wgs_110_tpt_22_dp_ip_CI_sbrr_dirReg
	.p2align	8
	.type	fft_rtc_back_len242_factors_11_2_11_wgs_110_tpt_22_dp_ip_CI_sbrr_dirReg,@function
fft_rtc_back_len242_factors_11_2_11_wgs_110_tpt_22_dp_ip_CI_sbrr_dirReg: ; @fft_rtc_back_len242_factors_11_2_11_wgs_110_tpt_22_dp_ip_CI_sbrr_dirReg
; %bb.0:
	s_clause 0x1
	s_load_dwordx2 s[14:15], s[4:5], 0x18
	s_load_dwordx4 s[8:11], s[4:5], 0x0
	v_mul_u32_u24_e32 v1, 0xba3, v0
	v_mov_b32_e32 v3, 0
	s_load_dwordx2 s[12:13], s[4:5], 0x50
	s_waitcnt lgkmcnt(0)
	s_load_dwordx2 s[2:3], s[14:15], 0x0
	v_lshrrev_b32_e32 v1, 16, v1
	v_cmp_lt_u64_e64 s0, s[10:11], 2
	v_mad_u64_u32 v[44:45], null, s6, 5, v[1:2]
	v_mov_b32_e32 v45, v3
	v_mov_b32_e32 v1, 0
	;; [unrolled: 1-line block ×3, first 2 shown]
	s_and_b32 vcc_lo, exec_lo, s0
	v_mov_b32_e32 v7, v44
	v_mov_b32_e32 v8, v45
	s_cbranch_vccnz .LBB0_8
; %bb.1:
	s_load_dwordx2 s[0:1], s[4:5], 0x10
	v_mov_b32_e32 v1, 0
	v_mov_b32_e32 v5, v44
	s_add_u32 s6, s14, 8
	v_mov_b32_e32 v2, 0
	v_mov_b32_e32 v6, v45
	s_addc_u32 s7, s15, 0
	s_mov_b64 s[18:19], 1
	s_waitcnt lgkmcnt(0)
	s_add_u32 s16, s0, 8
	s_addc_u32 s17, s1, 0
.LBB0_2:                                ; =>This Inner Loop Header: Depth=1
	s_load_dwordx2 s[20:21], s[16:17], 0x0
                                        ; implicit-def: $vgpr7_vgpr8
	s_mov_b32 s0, exec_lo
	s_waitcnt lgkmcnt(0)
	v_or_b32_e32 v4, s21, v6
	v_cmpx_ne_u64_e32 0, v[3:4]
	s_xor_b32 s1, exec_lo, s0
	s_cbranch_execz .LBB0_4
; %bb.3:                                ;   in Loop: Header=BB0_2 Depth=1
	v_cvt_f32_u32_e32 v4, s20
	v_cvt_f32_u32_e32 v7, s21
	s_sub_u32 s0, 0, s20
	s_subb_u32 s22, 0, s21
	v_fmac_f32_e32 v4, 0x4f800000, v7
	v_rcp_f32_e32 v4, v4
	v_mul_f32_e32 v4, 0x5f7ffffc, v4
	v_mul_f32_e32 v7, 0x2f800000, v4
	v_trunc_f32_e32 v7, v7
	v_fmac_f32_e32 v4, 0xcf800000, v7
	v_cvt_u32_f32_e32 v7, v7
	v_cvt_u32_f32_e32 v4, v4
	v_mul_lo_u32 v8, s0, v7
	v_mul_hi_u32 v9, s0, v4
	v_mul_lo_u32 v10, s22, v4
	v_add_nc_u32_e32 v8, v9, v8
	v_mul_lo_u32 v9, s0, v4
	v_add_nc_u32_e32 v8, v8, v10
	v_mul_hi_u32 v10, v4, v9
	v_mul_lo_u32 v11, v4, v8
	v_mul_hi_u32 v12, v4, v8
	v_mul_hi_u32 v13, v7, v9
	v_mul_lo_u32 v9, v7, v9
	v_mul_hi_u32 v14, v7, v8
	v_mul_lo_u32 v8, v7, v8
	v_add_co_u32 v10, vcc_lo, v10, v11
	v_add_co_ci_u32_e32 v11, vcc_lo, 0, v12, vcc_lo
	v_add_co_u32 v9, vcc_lo, v10, v9
	v_add_co_ci_u32_e32 v9, vcc_lo, v11, v13, vcc_lo
	v_add_co_ci_u32_e32 v10, vcc_lo, 0, v14, vcc_lo
	v_add_co_u32 v8, vcc_lo, v9, v8
	v_add_co_ci_u32_e32 v9, vcc_lo, 0, v10, vcc_lo
	v_add_co_u32 v4, vcc_lo, v4, v8
	v_add_co_ci_u32_e32 v7, vcc_lo, v7, v9, vcc_lo
	v_mul_hi_u32 v8, s0, v4
	v_mul_lo_u32 v10, s22, v4
	v_mul_lo_u32 v9, s0, v7
	v_add_nc_u32_e32 v8, v8, v9
	v_mul_lo_u32 v9, s0, v4
	v_add_nc_u32_e32 v8, v8, v10
	v_mul_hi_u32 v10, v4, v9
	v_mul_lo_u32 v11, v4, v8
	v_mul_hi_u32 v12, v4, v8
	v_mul_hi_u32 v13, v7, v9
	v_mul_lo_u32 v9, v7, v9
	v_mul_hi_u32 v14, v7, v8
	v_mul_lo_u32 v8, v7, v8
	v_add_co_u32 v10, vcc_lo, v10, v11
	v_add_co_ci_u32_e32 v11, vcc_lo, 0, v12, vcc_lo
	v_add_co_u32 v9, vcc_lo, v10, v9
	v_add_co_ci_u32_e32 v9, vcc_lo, v11, v13, vcc_lo
	v_add_co_ci_u32_e32 v10, vcc_lo, 0, v14, vcc_lo
	v_add_co_u32 v8, vcc_lo, v9, v8
	v_add_co_ci_u32_e32 v9, vcc_lo, 0, v10, vcc_lo
	v_add_co_u32 v4, vcc_lo, v4, v8
	v_add_co_ci_u32_e32 v11, vcc_lo, v7, v9, vcc_lo
	v_mul_hi_u32 v13, v5, v4
	v_mad_u64_u32 v[9:10], null, v6, v4, 0
	v_mad_u64_u32 v[7:8], null, v5, v11, 0
	v_mad_u64_u32 v[11:12], null, v6, v11, 0
	v_add_co_u32 v4, vcc_lo, v13, v7
	v_add_co_ci_u32_e32 v7, vcc_lo, 0, v8, vcc_lo
	v_add_co_u32 v4, vcc_lo, v4, v9
	v_add_co_ci_u32_e32 v4, vcc_lo, v7, v10, vcc_lo
	v_add_co_ci_u32_e32 v7, vcc_lo, 0, v12, vcc_lo
	v_add_co_u32 v4, vcc_lo, v4, v11
	v_add_co_ci_u32_e32 v9, vcc_lo, 0, v7, vcc_lo
	v_mul_lo_u32 v10, s21, v4
	v_mad_u64_u32 v[7:8], null, s20, v4, 0
	v_mul_lo_u32 v11, s20, v9
	v_sub_co_u32 v7, vcc_lo, v5, v7
	v_add3_u32 v8, v8, v11, v10
	v_sub_nc_u32_e32 v10, v6, v8
	v_subrev_co_ci_u32_e64 v10, s0, s21, v10, vcc_lo
	v_add_co_u32 v11, s0, v4, 2
	v_add_co_ci_u32_e64 v12, s0, 0, v9, s0
	v_sub_co_u32 v13, s0, v7, s20
	v_sub_co_ci_u32_e32 v8, vcc_lo, v6, v8, vcc_lo
	v_subrev_co_ci_u32_e64 v10, s0, 0, v10, s0
	v_cmp_le_u32_e32 vcc_lo, s20, v13
	v_cmp_eq_u32_e64 s0, s21, v8
	v_cndmask_b32_e64 v13, 0, -1, vcc_lo
	v_cmp_le_u32_e32 vcc_lo, s21, v10
	v_cndmask_b32_e64 v14, 0, -1, vcc_lo
	v_cmp_le_u32_e32 vcc_lo, s20, v7
	;; [unrolled: 2-line block ×3, first 2 shown]
	v_cndmask_b32_e64 v15, 0, -1, vcc_lo
	v_cmp_eq_u32_e32 vcc_lo, s21, v10
	v_cndmask_b32_e64 v7, v15, v7, s0
	v_cndmask_b32_e32 v10, v14, v13, vcc_lo
	v_add_co_u32 v13, vcc_lo, v4, 1
	v_add_co_ci_u32_e32 v14, vcc_lo, 0, v9, vcc_lo
	v_cmp_ne_u32_e32 vcc_lo, 0, v10
	v_cndmask_b32_e32 v8, v14, v12, vcc_lo
	v_cndmask_b32_e32 v10, v13, v11, vcc_lo
	v_cmp_ne_u32_e32 vcc_lo, 0, v7
	v_cndmask_b32_e32 v8, v9, v8, vcc_lo
	v_cndmask_b32_e32 v7, v4, v10, vcc_lo
.LBB0_4:                                ;   in Loop: Header=BB0_2 Depth=1
	s_andn2_saveexec_b32 s0, s1
	s_cbranch_execz .LBB0_6
; %bb.5:                                ;   in Loop: Header=BB0_2 Depth=1
	v_cvt_f32_u32_e32 v4, s20
	s_sub_i32 s1, 0, s20
	v_rcp_iflag_f32_e32 v4, v4
	v_mul_f32_e32 v4, 0x4f7ffffe, v4
	v_cvt_u32_f32_e32 v4, v4
	v_mul_lo_u32 v7, s1, v4
	v_mul_hi_u32 v7, v4, v7
	v_add_nc_u32_e32 v4, v4, v7
	v_mul_hi_u32 v4, v5, v4
	v_mul_lo_u32 v7, v4, s20
	v_add_nc_u32_e32 v8, 1, v4
	v_sub_nc_u32_e32 v7, v5, v7
	v_subrev_nc_u32_e32 v9, s20, v7
	v_cmp_le_u32_e32 vcc_lo, s20, v7
	v_cndmask_b32_e32 v7, v7, v9, vcc_lo
	v_cndmask_b32_e32 v4, v4, v8, vcc_lo
	v_cmp_le_u32_e32 vcc_lo, s20, v7
	v_add_nc_u32_e32 v8, 1, v4
	v_cndmask_b32_e32 v7, v4, v8, vcc_lo
	v_mov_b32_e32 v8, v3
.LBB0_6:                                ;   in Loop: Header=BB0_2 Depth=1
	s_or_b32 exec_lo, exec_lo, s0
	s_load_dwordx2 s[0:1], s[6:7], 0x0
	v_mul_lo_u32 v4, v8, s20
	v_mul_lo_u32 v11, v7, s21
	v_mad_u64_u32 v[9:10], null, v7, s20, 0
	s_add_u32 s18, s18, 1
	s_addc_u32 s19, s19, 0
	s_add_u32 s6, s6, 8
	s_addc_u32 s7, s7, 0
	s_add_u32 s16, s16, 8
	s_addc_u32 s17, s17, 0
	v_add3_u32 v4, v10, v11, v4
	v_sub_co_u32 v5, vcc_lo, v5, v9
	v_sub_co_ci_u32_e32 v4, vcc_lo, v6, v4, vcc_lo
	s_waitcnt lgkmcnt(0)
	v_mul_lo_u32 v6, s1, v5
	v_mul_lo_u32 v4, s0, v4
	v_mad_u64_u32 v[1:2], null, s0, v5, v[1:2]
	v_cmp_ge_u64_e64 s0, s[18:19], s[10:11]
	s_and_b32 vcc_lo, exec_lo, s0
	v_add3_u32 v2, v6, v2, v4
	s_cbranch_vccnz .LBB0_8
; %bb.7:                                ;   in Loop: Header=BB0_2 Depth=1
	v_mov_b32_e32 v5, v7
	v_mov_b32_e32 v6, v8
	s_branch .LBB0_2
.LBB0_8:
	s_lshl_b64 s[0:1], s[10:11], 3
	v_mul_hi_u32 v3, 0xba2e8bb, v0
	s_add_u32 s0, s14, s0
	s_addc_u32 s1, s15, s1
	s_load_dwordx2 s[4:5], s[4:5], 0x20
	s_load_dwordx2 s[0:1], s[0:1], 0x0
	v_mul_u32_u24_e32 v3, 22, v3
	v_sub_nc_u32_e32 v57, v0, v3
	v_add_nc_u32_e32 v61, 22, v57
	v_add_nc_u32_e32 v62, 44, v57
	;; [unrolled: 1-line block ×5, first 2 shown]
	s_waitcnt lgkmcnt(0)
	v_cmp_gt_u64_e32 vcc_lo, s[4:5], v[7:8]
	v_mul_lo_u32 v3, s0, v8
	v_mul_lo_u32 v4, s1, v7
	v_mad_u64_u32 v[0:1], null, s0, v7, v[1:2]
	v_cmp_le_u64_e64 s0, s[4:5], v[7:8]
                                        ; implicit-def: $sgpr4
	v_add3_u32 v1, v4, v1, v3
	s_and_saveexec_b32 s1, s0
	s_xor_b32 s0, exec_lo, s1
; %bb.9:
	v_add_nc_u32_e32 v61, 22, v57
	v_add_nc_u32_e32 v62, 44, v57
	;; [unrolled: 1-line block ×5, first 2 shown]
	s_mov_b32 s4, 0
; %bb.10:
	s_or_saveexec_b32 s1, s0
	v_lshlrev_b64 v[80:81], 4, v[0:1]
	v_mov_b32_e32 v86, s4
                                        ; implicit-def: $vgpr6_vgpr7
                                        ; implicit-def: $vgpr10_vgpr11
                                        ; implicit-def: $vgpr14_vgpr15
                                        ; implicit-def: $vgpr18_vgpr19
                                        ; implicit-def: $vgpr22_vgpr23
                                        ; implicit-def: $vgpr26_vgpr27
                                        ; implicit-def: $vgpr34_vgpr35
                                        ; implicit-def: $vgpr38_vgpr39
                                        ; implicit-def: $vgpr42_vgpr43
                                        ; implicit-def: $vgpr30_vgpr31
                                        ; implicit-def: $vgpr2_vgpr3
	s_xor_b32 exec_lo, exec_lo, s1
	s_cbranch_execz .LBB0_12
; %bb.11:
	v_mad_u64_u32 v[0:1], null, s2, v57, 0
	v_mad_u64_u32 v[2:3], null, s2, v61, 0
	;; [unrolled: 1-line block ×3, first 2 shown]
	v_add_co_u32 v21, s0, s12, v80
	v_add_co_ci_u32_e64 v22, s0, s13, v81, s0
	v_mad_u64_u32 v[6:7], null, s3, v57, v[1:2]
	v_mad_u64_u32 v[7:8], null, s2, v60, 0
	;; [unrolled: 1-line block ×4, first 2 shown]
	v_mov_b32_e32 v1, v6
	v_mad_u64_u32 v[14:15], null, s2, v58, 0
	v_mov_b32_e32 v6, v8
	v_mov_b32_e32 v3, v9
	v_lshlrev_b64 v[0:1], 4, v[0:1]
	v_add_nc_u32_e32 v18, 0x9a, v57
	v_add_nc_u32_e32 v20, 0xb0, v57
	v_mad_u64_u32 v[8:9], null, s3, v62, v[5:6]
	v_lshlrev_b64 v[2:3], 4, v[2:3]
	v_add_co_u32 v0, s0, v21, v0
	v_add_co_ci_u32_e64 v1, s0, v22, v1, s0
	v_add_nc_u32_e32 v23, 0xc6, v57
	v_mov_b32_e32 v5, v8
	v_mad_u64_u32 v[8:9], null, s3, v60, v[6:7]
	v_add_co_u32 v12, s0, v21, v2
	v_mov_b32_e32 v6, v11
	v_add_co_ci_u32_e64 v13, s0, v22, v3, s0
	s_clause 0x1
	global_load_dwordx4 v[0:3], v[0:1], off
	global_load_dwordx4 v[28:31], v[12:13], off
	v_mad_u64_u32 v[11:12], null, s3, v59, v[6:7]
	v_lshlrev_b64 v[7:8], 4, v[7:8]
	v_lshlrev_b64 v[4:5], 4, v[4:5]
	v_mov_b32_e32 v6, v15
	v_mad_u64_u32 v[16:17], null, s2, v23, 0
	v_add_nc_u32_e32 v45, 0xdc, v57
	v_mov_b32_e32 v86, v57
	v_mad_u64_u32 v[12:13], null, s3, v58, v[6:7]
	v_add_co_u32 v4, s0, v21, v4
	v_add_nc_u32_e32 v13, 0x84, v57
	v_add_co_ci_u32_e64 v5, s0, v22, v5, s0
	v_add_co_u32 v6, s0, v21, v7
	v_add_co_ci_u32_e64 v7, s0, v22, v8, s0
	v_lshlrev_b64 v[8:9], 4, v[10:11]
	v_mad_u64_u32 v[10:11], null, s2, v13, 0
	v_mov_b32_e32 v15, v12
	s_clause 0x1
	global_load_dwordx4 v[40:43], v[4:5], off
	global_load_dwordx4 v[36:39], v[6:7], off
	v_add_co_u32 v4, s0, v21, v8
	v_lshlrev_b64 v[7:8], 4, v[14:15]
	v_mov_b32_e32 v6, v11
	v_mad_u64_u32 v[14:15], null, s2, v20, 0
	v_add_co_ci_u32_e64 v5, s0, v22, v9, s0
	v_mad_u64_u32 v[11:12], null, s3, v13, v[6:7]
	v_mad_u64_u32 v[12:13], null, s2, v18, 0
	v_add_co_u32 v6, s0, v21, v7
	v_add_co_ci_u32_e64 v7, s0, v22, v8, s0
	v_mov_b32_e32 v9, v15
	s_clause 0x1
	global_load_dwordx4 v[32:35], v[4:5], off
	global_load_dwordx4 v[24:27], v[6:7], off
	v_mov_b32_e32 v8, v13
	v_lshlrev_b64 v[5:6], 4, v[10:11]
	v_mov_b32_e32 v4, v17
	v_mad_u64_u32 v[18:19], null, s3, v18, v[8:9]
	v_mad_u64_u32 v[8:9], null, s3, v20, v[9:10]
	;; [unrolled: 1-line block ×3, first 2 shown]
	v_mov_b32_e32 v13, v18
	v_mov_b32_e32 v15, v8
	v_mad_u64_u32 v[7:8], null, s3, v23, v[4:5]
	v_mov_b32_e32 v4, v20
	v_add_co_u32 v5, s0, v21, v5
	v_lshlrev_b64 v[8:9], 4, v[12:13]
	v_add_co_ci_u32_e64 v6, s0, v22, v6, s0
	v_mad_u64_u32 v[10:11], null, s3, v45, v[4:5]
	v_lshlrev_b64 v[11:12], 4, v[14:15]
	v_mov_b32_e32 v17, v7
	v_add_co_u32 v7, s0, v21, v8
	v_add_co_ci_u32_e64 v8, s0, v22, v9, s0
	v_mov_b32_e32 v20, v10
	v_lshlrev_b64 v[13:14], 4, v[16:17]
	v_add_co_u32 v9, s0, v21, v11
	v_add_co_ci_u32_e64 v10, s0, v22, v12, s0
	v_lshlrev_b64 v[11:12], 4, v[19:20]
	v_add_co_u32 v45, s0, v21, v13
	v_add_co_ci_u32_e64 v46, s0, v22, v14, s0
	v_add_co_u32 v47, s0, v21, v11
	v_add_co_ci_u32_e64 v48, s0, v22, v12, s0
	s_clause 0x4
	global_load_dwordx4 v[20:23], v[5:6], off
	global_load_dwordx4 v[16:19], v[7:8], off
	;; [unrolled: 1-line block ×5, first 2 shown]
.LBB0_12:
	s_or_b32 exec_lo, exec_lo, s1
	s_waitcnt vmcnt(9)
	v_add_f64 v[63:64], v[28:29], v[0:1]
	v_add_f64 v[65:66], v[30:31], v[2:3]
	s_waitcnt vmcnt(1)
	v_add_f64 v[82:83], v[8:9], v[40:41]
	v_add_f64 v[84:85], v[10:11], v[42:43]
	v_add_f64 v[87:88], v[40:41], -v[8:9]
	v_add_f64 v[89:90], v[42:43], -v[10:11]
	v_add_f64 v[71:72], v[12:13], v[36:37]
	v_add_f64 v[73:74], v[14:15], v[38:39]
	v_add_f64 v[75:76], v[36:37], -v[12:13]
	v_add_f64 v[77:78], v[38:39], -v[14:15]
	s_waitcnt vmcnt(0)
	v_add_f64 v[91:92], v[30:31], -v[6:7]
	v_add_f64 v[93:94], v[4:5], v[28:29]
	v_add_f64 v[28:29], v[28:29], -v[4:5]
	v_add_f64 v[51:52], v[16:17], v[32:33]
	v_add_f64 v[49:50], v[18:19], v[34:35]
	v_add_f64 v[67:68], v[32:33], -v[16:17]
	v_add_f64 v[69:70], v[34:35], -v[18:19]
	s_mov_b32 s24, 0xf8bb580b
	s_mov_b32 s25, 0xbfe14ced
	;; [unrolled: 1-line block ×5, first 2 shown]
	v_add_f64 v[40:41], v[40:41], v[63:64]
	v_add_f64 v[42:43], v[42:43], v[65:66]
	s_mov_b32 s19, 0xbfed1bb4
	s_mov_b32 s18, 0x8eee2c13
	;; [unrolled: 1-line block ×5, first 2 shown]
	v_add_f64 v[30:31], v[6:7], v[30:31]
	v_add_f64 v[47:48], v[20:21], v[24:25]
	;; [unrolled: 1-line block ×3, first 2 shown]
	v_add_f64 v[53:54], v[24:25], -v[20:21]
	v_add_f64 v[55:56], v[26:27], -v[22:23]
	v_mul_f64 v[95:96], v[28:29], s[24:25]
	v_mul_f64 v[63:64], v[91:92], s[16:17]
	;; [unrolled: 1-line block ×5, first 2 shown]
	s_mov_b32 s0, 0x8764f0ba
	s_mov_b32 s1, 0x3feaeb8c
	;; [unrolled: 1-line block ×5, first 2 shown]
	v_add_f64 v[36:37], v[36:37], v[40:41]
	v_add_f64 v[38:39], v[38:39], v[42:43]
	v_mul_f64 v[40:41], v[91:92], s[24:25]
	v_mul_f64 v[42:43], v[91:92], s[18:19]
	;; [unrolled: 1-line block ×3, first 2 shown]
	s_mov_b32 s4, 0x9bcd5057
	s_mov_b32 s11, 0x3fda9628
	;; [unrolled: 1-line block ×7, first 2 shown]
	v_mul_f64 v[103:104], v[89:90], s[18:19]
	v_mul_f64 v[105:106], v[87:88], s[18:19]
	v_fma_f64 v[141:142], v[30:31], s[0:1], -v[95:96]
	v_mul_f64 v[115:116], v[89:90], s[22:23]
	v_mul_f64 v[117:118], v[87:88], s[22:23]
	;; [unrolled: 1-line block ×3, first 2 shown]
	v_fma_f64 v[157:158], v[93:94], s[6:7], v[63:64]
	v_fma_f64 v[63:64], v[93:94], s[6:7], -v[63:64]
	v_fma_f64 v[159:160], v[30:31], s[10:11], -v[97:98]
	s_mov_b32 s19, 0x3fed1bb4
	v_add_f64 v[32:33], v[32:33], v[36:37]
	v_add_f64 v[34:35], v[34:35], v[38:39]
	v_fma_f64 v[139:140], v[93:94], s[0:1], v[40:41]
	v_fma_f64 v[40:41], v[93:94], s[0:1], -v[40:41]
	v_fma_f64 v[155:156], v[93:94], s[10:11], v[42:43]
	v_fma_f64 v[42:43], v[93:94], s[10:11], -v[42:43]
	v_mul_f64 v[101:102], v[28:29], s[22:23]
	v_mul_f64 v[28:29], v[28:29], s[20:21]
	;; [unrolled: 1-line block ×6, first 2 shown]
	v_fma_f64 v[161:162], v[82:83], s[10:11], v[103:104]
	v_fma_f64 v[163:164], v[84:85], s[10:11], -v[105:106]
	v_add_f64 v[141:142], v[2:3], v[141:142]
	v_mul_f64 v[131:132], v[89:90], s[30:31]
	v_mul_f64 v[153:154], v[75:76], s[18:19]
	v_fma_f64 v[171:172], v[82:83], s[14:15], v[115:116]
	v_fma_f64 v[173:174], v[84:85], s[14:15], -v[117:118]
	v_fma_f64 v[179:180], v[84:85], s[4:5], -v[133:134]
	v_add_f64 v[159:160], v[2:3], v[159:160]
	s_mov_b32 s29, 0x3fefac9e
	v_add_f64 v[24:25], v[24:25], v[32:33]
	v_add_f64 v[26:27], v[26:27], v[34:35]
	;; [unrolled: 1-line block ×3, first 2 shown]
	s_mov_b32 s28, s16
	v_add_f64 v[155:156], v[0:1], v[155:156]
	v_mul_f64 v[38:39], v[69:70], s[22:23]
	v_mul_f64 v[109:110], v[67:68], s[22:23]
	v_fma_f64 v[165:166], v[30:31], s[14:15], -v[101:102]
	v_fma_f64 v[101:102], v[30:31], s[14:15], v[101:102]
	v_fma_f64 v[167:168], v[30:31], s[4:5], -v[28:29]
	v_fma_f64 v[28:29], v[30:31], s[4:5], v[28:29]
	v_fma_f64 v[169:170], v[73:74], s[6:7], -v[36:37]
	v_mul_f64 v[123:124], v[69:70], s[28:29]
	v_mul_f64 v[125:126], v[67:68], s[28:29]
	v_add_f64 v[141:142], v[163:164], v[141:142]
	v_mul_f64 v[137:138], v[67:68], s[24:25]
	v_mul_f64 v[143:144], v[89:90], s[28:29]
	;; [unrolled: 1-line block ×3, first 2 shown]
	v_fma_f64 v[175:176], v[71:72], s[4:5], v[119:120]
	v_fma_f64 v[177:178], v[82:83], s[4:5], v[131:132]
	v_fma_f64 v[181:182], v[73:74], s[4:5], -v[121:122]
	v_fma_f64 v[131:132], v[82:83], s[4:5], -v[131:132]
	v_add_f64 v[20:21], v[20:21], v[24:25]
	v_add_f64 v[22:23], v[22:23], v[26:27]
	v_fma_f64 v[24:25], v[93:94], s[14:15], v[65:66]
	v_fma_f64 v[26:27], v[93:94], s[14:15], -v[65:66]
	v_fma_f64 v[65:66], v[93:94], s[4:5], v[91:92]
	v_fma_f64 v[91:92], v[93:94], s[4:5], -v[91:92]
	v_fma_f64 v[93:94], v[30:31], s[0:1], v[95:96]
	v_fma_f64 v[95:96], v[30:31], s[10:11], v[97:98]
	v_fma_f64 v[97:98], v[30:31], s[6:7], -v[99:100]
	v_fma_f64 v[99:100], v[30:31], s[6:7], v[99:100]
	v_fma_f64 v[30:31], v[71:72], s[6:7], v[107:108]
	v_add_f64 v[139:140], v[161:162], v[139:140]
	v_fma_f64 v[133:134], v[84:85], s[4:5], v[133:134]
	v_add_f64 v[63:64], v[0:1], v[63:64]
	v_add_f64 v[155:156], v[171:172], v[155:156]
	;; [unrolled: 1-line block ×3, first 2 shown]
	v_fma_f64 v[171:172], v[73:74], s[10:11], -v[153:154]
	s_mov_b32 s27, 0x3fe14ced
	s_mov_b32 s26, s24
	v_mul_f64 v[111:112], v[55:56], s[20:21]
	v_mul_f64 v[113:114], v[53:54], s[20:21]
	;; [unrolled: 1-line block ×3, first 2 shown]
	v_add_f64 v[16:17], v[16:17], v[20:21]
	v_add_f64 v[18:19], v[18:19], v[22:23]
	v_fma_f64 v[20:21], v[51:52], s[14:15], v[38:39]
	v_fma_f64 v[22:23], v[49:50], s[14:15], -v[109:110]
	v_add_f64 v[157:158], v[0:1], v[157:158]
	v_mul_f64 v[135:136], v[69:70], s[24:25]
	v_mul_f64 v[147:148], v[77:78], s[24:25]
	;; [unrolled: 1-line block ×3, first 2 shown]
	v_add_f64 v[97:98], v[2:3], v[97:98]
	v_add_f64 v[99:100], v[2:3], v[99:100]
	v_mul_f64 v[87:88], v[87:88], s[26:27]
	v_add_f64 v[30:31], v[30:31], v[139:140]
	v_add_f64 v[139:140], v[169:170], v[141:142]
	v_fma_f64 v[183:184], v[51:52], s[6:7], v[123:124]
	v_fma_f64 v[185:186], v[49:50], s[6:7], -v[125:126]
	v_fma_f64 v[141:142], v[49:50], s[0:1], -v[137:138]
	v_fma_f64 v[169:170], v[71:72], s[10:11], v[151:152]
	v_fma_f64 v[173:174], v[82:83], s[6:7], v[143:144]
	v_fma_f64 v[151:152], v[71:72], s[10:11], -v[151:152]
	v_fma_f64 v[153:154], v[73:74], s[10:11], v[153:154]
	v_add_f64 v[24:25], v[0:1], v[24:25]
	v_add_f64 v[63:64], v[131:132], v[63:64]
	;; [unrolled: 1-line block ×5, first 2 shown]
	v_mul_f64 v[149:150], v[75:76], s[24:25]
	v_fma_f64 v[161:162], v[47:48], s[4:5], v[111:112]
	v_fma_f64 v[163:164], v[45:46], s[4:5], -v[113:114]
	v_add_f64 v[157:158], v[177:178], v[157:158]
	v_fma_f64 v[177:178], v[84:85], s[6:7], -v[145:146]
	v_add_f64 v[97:98], v[179:180], v[97:98]
	v_add_f64 v[99:100], v[133:134], v[99:100]
	;; [unrolled: 1-line block ×6, first 2 shown]
	v_fma_f64 v[18:19], v[51:52], s[0:1], v[135:136]
	v_fma_f64 v[135:136], v[51:52], s[0:1], -v[135:136]
	v_add_f64 v[40:41], v[0:1], v[40:41]
	v_add_f64 v[93:94], v[2:3], v[93:94]
	;; [unrolled: 1-line block ×18, first 2 shown]
	v_fma_f64 v[131:132], v[82:83], s[6:7], -v[143:144]
	v_fma_f64 v[133:134], v[84:85], s[6:7], v[145:146]
	v_fma_f64 v[143:144], v[84:85], s[0:1], -v[87:88]
	v_mul_f64 v[77:78], v[77:78], s[22:23]
	v_mul_f64 v[75:76], v[75:76], s[22:23]
	v_fma_f64 v[87:88], v[84:85], s[0:1], v[87:88]
	v_fma_f64 v[103:104], v[82:83], s[10:11], -v[103:104]
	v_fma_f64 v[105:106], v[84:85], s[10:11], v[105:106]
	v_fma_f64 v[84:85], v[84:85], s[14:15], v[117:118]
	v_add_f64 v[8:9], v[161:162], v[20:21]
	v_add_f64 v[10:11], v[163:164], v[22:23]
	;; [unrolled: 1-line block ×3, first 2 shown]
	v_fma_f64 v[14:15], v[71:72], s[0:1], v[147:148]
	v_add_f64 v[4:5], v[4:5], v[12:13]
	v_add_f64 v[12:13], v[177:178], v[30:31]
	v_fma_f64 v[20:21], v[73:74], s[0:1], -v[149:150]
	v_mul_f64 v[22:23], v[69:70], s[20:21]
	v_add_f64 v[28:29], v[135:136], v[28:29]
	v_add_f64 v[97:98], v[141:142], v[97:98]
	v_fma_f64 v[141:142], v[82:83], s[0:1], v[89:90]
	v_fma_f64 v[89:90], v[82:83], s[0:1], -v[89:90]
	v_fma_f64 v[82:83], v[82:83], s[14:15], -v[115:116]
	v_add_f64 v[26:27], v[131:132], v[26:27]
	v_add_f64 v[101:102], v[133:134], v[101:102]
	v_fma_f64 v[117:118], v[73:74], s[0:1], v[149:150]
	v_add_f64 v[131:132], v[143:144], v[155:156]
	v_fma_f64 v[133:134], v[71:72], s[14:15], v[77:78]
	v_fma_f64 v[135:136], v[73:74], s[14:15], -v[75:76]
	v_mul_f64 v[69:70], v[69:70], s[18:19]
	v_fma_f64 v[77:78], v[71:72], s[14:15], -v[77:78]
	v_add_f64 v[2:3], v[87:88], v[2:3]
	v_fma_f64 v[75:76], v[73:74], s[14:15], v[75:76]
	v_fma_f64 v[115:116], v[71:72], s[0:1], -v[147:148]
	v_add_f64 v[40:41], v[103:104], v[40:41]
	v_add_f64 v[14:15], v[14:15], v[24:25]
	v_mul_f64 v[24:25], v[67:68], s[20:21]
	v_mul_f64 v[67:68], v[67:68], s[18:19]
	v_fma_f64 v[36:37], v[73:74], s[6:7], v[36:37]
	v_add_f64 v[84:85], v[84:85], v[95:96]
	v_fma_f64 v[73:74], v[73:74], s[4:5], v[121:122]
	v_add_f64 v[87:88], v[105:106], v[93:94]
	v_add_f64 v[65:66], v[141:142], v[65:66]
	;; [unrolled: 1-line block ×4, first 2 shown]
	v_fma_f64 v[82:83], v[71:72], s[6:7], -v[107:108]
	v_fma_f64 v[71:72], v[71:72], s[4:5], -v[119:120]
	v_mul_f64 v[32:33], v[55:56], s[22:23]
	v_add_f64 v[139:140], v[169:170], v[157:158]
	v_mul_f64 v[127:128], v[55:56], s[26:27]
	v_mul_f64 v[129:130], v[53:54], s[26:27]
	v_add_f64 v[12:13], v[20:21], v[12:13]
	v_fma_f64 v[20:21], v[51:52], s[4:5], v[22:23]
	v_mul_f64 v[34:35], v[53:54], s[22:23]
	v_mul_f64 v[93:94], v[55:56], s[18:19]
	v_add_f64 v[101:102], v[117:118], v[101:102]
	v_add_f64 v[103:104], v[135:136], v[131:132]
	v_fma_f64 v[105:106], v[51:52], s[10:11], v[69:70]
	v_fma_f64 v[89:90], v[49:50], s[4:5], -v[24:25]
	v_fma_f64 v[24:25], v[49:50], s[4:5], v[24:25]
	v_fma_f64 v[107:108], v[49:50], s[10:11], -v[67:68]
	v_mul_f64 v[55:56], v[55:56], s[16:17]
	v_fma_f64 v[69:70], v[51:52], s[10:11], -v[69:70]
	v_mul_f64 v[95:96], v[53:54], s[18:19]
	v_fma_f64 v[137:138], v[49:50], s[0:1], v[137:138]
	v_add_f64 v[0:1], v[77:78], v[0:1]
	v_add_f64 v[65:66], v[133:134], v[65:66]
	v_mul_f64 v[53:54], v[53:54], s[16:17]
	v_add_f64 v[2:3], v[75:76], v[2:3]
	v_fma_f64 v[67:68], v[49:50], s[10:11], v[67:68]
	v_add_f64 v[26:27], v[115:116], v[26:27]
	v_fma_f64 v[22:23], v[51:52], s[4:5], -v[22:23]
	v_add_f64 v[40:41], v[82:83], v[40:41]
	v_add_f64 v[42:43], v[71:72], v[42:43]
	v_fma_f64 v[38:39], v[51:52], s[14:15], -v[38:39]
	v_fma_f64 v[71:72], v[49:50], s[14:15], v[109:110]
	v_fma_f64 v[51:52], v[51:52], s[6:7], -v[123:124]
	v_add_f64 v[73:74], v[73:74], v[84:85]
	v_fma_f64 v[49:50], v[49:50], s[6:7], v[125:126]
	v_add_f64 v[36:37], v[36:37], v[87:88]
	v_add_f64 v[18:19], v[18:19], v[139:140]
	v_fma_f64 v[139:140], v[47:48], s[14:15], v[32:33]
	v_fma_f64 v[32:33], v[47:48], s[14:15], -v[32:33]
	v_fma_f64 v[16:17], v[47:48], s[0:1], v[127:128]
	v_fma_f64 v[30:31], v[45:46], s[0:1], -v[129:130]
	v_add_f64 v[75:76], v[20:21], v[14:15]
	v_mul_hi_u32 v20, 0xcccccccd, v44
	v_fma_f64 v[145:146], v[45:46], s[14:15], -v[34:35]
	v_add_f64 v[77:78], v[89:90], v[12:13]
	v_add_f64 v[89:90], v[24:25], v[101:102]
	;; [unrolled: 1-line block ×3, first 2 shown]
	v_fma_f64 v[103:104], v[47:48], s[6:7], v[55:56]
	v_add_f64 v[0:1], v[69:70], v[0:1]
	v_fma_f64 v[55:56], v[47:48], s[6:7], -v[55:56]
	v_fma_f64 v[82:83], v[47:48], s[10:11], v[93:94]
	v_fma_f64 v[84:85], v[45:46], s[10:11], -v[95:96]
	v_add_f64 v[63:64], v[137:138], v[63:64]
	v_fma_f64 v[34:35], v[45:46], s[14:15], v[34:35]
	v_add_f64 v[65:66], v[105:106], v[65:66]
	v_fma_f64 v[105:106], v[45:46], s[6:7], -v[53:54]
	v_add_f64 v[2:3], v[67:68], v[2:3]
	v_fma_f64 v[53:54], v[45:46], s[6:7], v[53:54]
	v_add_f64 v[87:88], v[22:23], v[26:27]
	v_fma_f64 v[93:94], v[47:48], s[10:11], -v[93:94]
	v_fma_f64 v[95:96], v[45:46], s[10:11], v[95:96]
	v_add_f64 v[40:41], v[38:39], v[40:41]
	v_add_f64 v[42:43], v[51:52], v[42:43]
	;; [unrolled: 1-line block ×3, first 2 shown]
	v_fma_f64 v[51:52], v[47:48], s[4:5], -v[111:112]
	v_fma_f64 v[47:48], v[47:48], s[0:1], -v[127:128]
	v_fma_f64 v[69:70], v[45:46], s[0:1], v[129:130]
	v_add_f64 v[67:68], v[71:72], v[36:37]
	v_fma_f64 v[45:46], v[45:46], s[4:5], v[113:114]
	v_lshrrev_b32_e32 v24, 2, v20
	v_add_f64 v[20:21], v[32:33], v[28:29]
	v_add_f64 v[12:13], v[16:17], v[91:92]
	;; [unrolled: 1-line block ×4, first 2 shown]
	v_lshl_add_u32 v32, v24, 2, v24
	v_add_f64 v[18:19], v[145:146], v[97:98]
	v_add_f64 v[36:37], v[55:56], v[0:1]
	v_add_f64 v[24:25], v[82:83], v[75:76]
	v_add_f64 v[26:27], v[84:85], v[77:78]
	v_sub_nc_u32_e32 v44, v44, v32
	v_add_f64 v[22:23], v[34:35], v[63:64]
	v_add_f64 v[32:33], v[103:104], v[65:66]
	;; [unrolled: 1-line block ×4, first 2 shown]
	v_mul_u32_u24_e32 v55, 0xf2, v44
	v_add_f64 v[28:29], v[93:94], v[87:88]
	v_add_f64 v[30:31], v[95:96], v[89:90]
	;; [unrolled: 1-line block ×4, first 2 shown]
	v_lshl_add_u32 v44, v55, 4, 0
	v_add_f64 v[42:43], v[69:70], v[49:50]
	v_add_f64 v[2:3], v[45:46], v[67:68]
	v_cmp_gt_u32_e64 s0, 11, v57
	v_lshlrev_b32_e32 v54, 4, v58
	v_mad_u32_u24 v45, 0xb0, v57, v44
	v_lshl_add_u32 v73, v57, 4, v44
	v_lshl_add_u32 v72, v61, 4, v44
	;; [unrolled: 1-line block ×4, first 2 shown]
	v_mad_i32_i24 v76, 0xffffff60, v57, v45
	ds_write_b128 v45, v[4:7]
	ds_write_b128 v45, v[8:11] offset:16
	ds_write_b128 v45, v[12:15] offset:32
	;; [unrolled: 1-line block ×10, first 2 shown]
	s_waitcnt lgkmcnt(0)
	s_barrier
	buffer_gl0_inv
	ds_read_b128 v[8:11], v73
	ds_read_b128 v[28:31], v76 offset:1936
	v_lshl_add_u32 v53, v59, 4, v44
	ds_read_b128 v[20:23], v72
	ds_read_b128 v[12:15], v74
	ds_read_b128 v[40:43], v76 offset:2288
	ds_read_b128 v[32:35], v76 offset:2640
	ds_read_b128 v[24:27], v52
	ds_read_b128 v[16:19], v53
	ds_read_b128 v[44:47], v76 offset:2992
	ds_read_b128 v[36:39], v76 offset:3344
	v_lshlrev_b32_e32 v55, 4, v55
                                        ; implicit-def: $vgpr6_vgpr7
	s_and_saveexec_b32 s1, s0
	s_cbranch_execz .LBB0_14
; %bb.13:
	v_add3_u32 v0, 0, v54, v55
	ds_read_b128 v[0:3], v0
	ds_read_b128 v[4:7], v76 offset:3696
.LBB0_14:
	s_or_b32 exec_lo, exec_lo, s1
	v_and_b32_e32 v48, 0xff, v61
	v_and_b32_e32 v49, 0xff, v62
	;; [unrolled: 1-line block ×4, first 2 shown]
	v_add_nc_u32_e32 v66, -11, v57
	v_mul_lo_u16 v48, 0x75, v48
	v_mul_lo_u16 v49, 0x75, v49
	;; [unrolled: 1-line block ×4, first 2 shown]
	v_lshrrev_b16 v48, 8, v48
	v_lshrrev_b16 v49, 8, v49
	;; [unrolled: 1-line block ×4, first 2 shown]
	v_sub_nc_u16 v50, v61, v48
	v_sub_nc_u16 v63, v62, v49
	;; [unrolled: 1-line block ×4, first 2 shown]
	v_lshrrev_b16 v50, 1, v50
	v_lshrrev_b16 v63, 1, v63
	;; [unrolled: 1-line block ×4, first 2 shown]
	v_and_b32_e32 v67, 0x7f, v50
	v_and_b32_e32 v63, 0x7f, v63
	;; [unrolled: 1-line block ×4, first 2 shown]
	v_mov_b32_e32 v50, 0
	v_add_nc_u16 v67, v67, v48
	v_add_nc_u16 v49, v63, v49
	;; [unrolled: 1-line block ×4, first 2 shown]
	v_mov_b32_e32 v48, 4
	v_lshrrev_b16 v71, 3, v67
	v_lshrrev_b16 v75, 3, v49
	v_cndmask_b32_e64 v49, v66, v57, s0
	v_lshrrev_b16 v56, 3, v56
	v_lshrrev_b16 v79, 3, v51
	v_mul_lo_u16 v63, v71, 11
	v_mul_lo_u16 v64, v75, 11
	v_lshlrev_b64 v[50:51], 4, v[49:50]
	v_mul_lo_u16 v65, v56, 11
	v_mul_lo_u16 v66, v79, 11
	v_sub_nc_u16 v61, v61, v63
	v_sub_nc_u16 v62, v62, v64
	v_lshlrev_b32_e32 v49, 4, v49
	v_add_co_u32 v50, s1, s8, v50
	v_add_co_ci_u32_e64 v51, s1, s9, v51, s1
	v_sub_nc_u16 v63, v60, v65
	v_lshlrev_b32_sdwa v97, v48, v61 dst_sel:DWORD dst_unused:UNUSED_PAD src0_sel:DWORD src1_sel:BYTE_0
	v_sub_nc_u16 v67, v59, v66
	v_lshlrev_b32_sdwa v98, v48, v62 dst_sel:DWORD dst_unused:UNUSED_PAD src0_sel:DWORD src1_sel:BYTE_0
	global_load_dwordx4 v[59:62], v[50:51], off
	v_lshlrev_b32_sdwa v99, v48, v63 dst_sel:DWORD dst_unused:UNUSED_PAD src0_sel:DWORD src1_sel:BYTE_0
	global_load_dwordx4 v[63:66], v97, s[8:9]
	v_lshlrev_b32_sdwa v100, v48, v67 dst_sel:DWORD dst_unused:UNUSED_PAD src0_sel:DWORD src1_sel:BYTE_0
	s_clause 0x2
	global_load_dwordx4 v[67:70], v98, s[8:9]
	global_load_dwordx4 v[82:85], v99, s[8:9]
	;; [unrolled: 1-line block ×3, first 2 shown]
	v_cmp_lt_u32_e64 s1, 10, v57
	v_and_b32_e32 v56, 0xffff, v56
	s_waitcnt vmcnt(0) lgkmcnt(0)
	s_barrier
	buffer_gl0_inv
	v_mad_u32_u24 v56, 0x160, v56, 0
	v_add3_u32 v56, v56, v99, v55
	v_mul_f64 v[50:51], v[30:31], v[61:62]
	v_mul_f64 v[61:62], v[28:29], v[61:62]
	;; [unrolled: 1-line block ×10, first 2 shown]
	v_fma_f64 v[28:29], v[28:29], v[59:60], v[50:51]
	v_fma_f64 v[30:31], v[30:31], v[59:60], -v[61:62]
	v_fma_f64 v[40:41], v[40:41], v[63:64], v[77:78]
	v_fma_f64 v[42:43], v[42:43], v[63:64], -v[65:66]
	;; [unrolled: 2-line block ×5, first 2 shown]
	v_add_f64 v[28:29], v[8:9], -v[28:29]
	v_add_f64 v[30:31], v[10:11], -v[30:31]
	;; [unrolled: 1-line block ×10, first 2 shown]
	v_cndmask_b32_e64 v50, 0, 0x160, s1
	v_and_b32_e32 v51, 0xffff, v71
	v_and_b32_e32 v59, 0xffff, v75
	v_and_b32_e32 v60, 0xffff, v79
	v_add_nc_u32_e32 v50, 0, v50
	v_add3_u32 v49, v50, v49, v55
	v_mad_u32_u24 v50, 0x160, v51, 0
	v_fma_f64 v[8:9], v[8:9], 2.0, -v[28:29]
	v_fma_f64 v[10:11], v[10:11], 2.0, -v[30:31]
	v_fma_f64 v[20:21], v[20:21], 2.0, -v[32:33]
	v_fma_f64 v[22:23], v[22:23], 2.0, -v[34:35]
	v_fma_f64 v[12:13], v[12:13], 2.0, -v[36:37]
	v_fma_f64 v[14:15], v[14:15], 2.0, -v[38:39]
	v_fma_f64 v[24:25], v[24:25], 2.0, -v[40:41]
	v_fma_f64 v[26:27], v[26:27], 2.0, -v[42:43]
	v_fma_f64 v[16:17], v[16:17], 2.0, -v[44:45]
	v_fma_f64 v[18:19], v[18:19], 2.0, -v[46:47]
	v_mad_u32_u24 v51, 0x160, v59, 0
	v_mad_u32_u24 v59, 0x160, v60, 0
	v_add3_u32 v50, v50, v97, v55
	v_add3_u32 v51, v51, v98, v55
	;; [unrolled: 1-line block ×3, first 2 shown]
	ds_write_b128 v49, v[28:31] offset:176
	ds_write_b128 v49, v[8:11]
	ds_write_b128 v50, v[32:35] offset:176
	ds_write_b128 v50, v[20:23]
	ds_write_b128 v51, v[12:15]
	ds_write_b128 v51, v[36:39] offset:176
	ds_write_b128 v56, v[24:27]
	ds_write_b128 v56, v[40:43] offset:176
	;; [unrolled: 2-line block ×3, first 2 shown]
	s_and_saveexec_b32 s1, s0
	s_cbranch_execz .LBB0_16
; %bb.15:
	v_and_b32_e32 v8, 0xff, v58
	v_mul_lo_u16 v8, 0x75, v8
	v_lshrrev_b16 v8, 8, v8
	v_sub_nc_u16 v9, v58, v8
	v_lshrrev_b16 v9, 1, v9
	v_and_b32_e32 v9, 0x7f, v9
	v_add_nc_u16 v8, v9, v8
	v_lshrrev_b16 v8, 3, v8
	v_mul_lo_u16 v8, v8, 11
	v_sub_nc_u16 v8, v58, v8
	v_lshlrev_b32_sdwa v14, v48, v8 dst_sel:DWORD dst_unused:UNUSED_PAD src0_sel:DWORD src1_sel:BYTE_0
	global_load_dwordx4 v[8:11], v14, s[8:9]
	s_waitcnt vmcnt(0)
	v_mul_f64 v[12:13], v[4:5], v[10:11]
	v_mul_f64 v[10:11], v[6:7], v[10:11]
	v_fma_f64 v[6:7], v[6:7], v[8:9], -v[12:13]
	v_fma_f64 v[4:5], v[4:5], v[8:9], v[10:11]
	v_add3_u32 v8, 0, v14, v55
	v_add_f64 v[6:7], v[2:3], -v[6:7]
	v_add_f64 v[4:5], v[0:1], -v[4:5]
	v_fma_f64 v[2:3], v[2:3], 2.0, -v[6:7]
	v_fma_f64 v[0:1], v[0:1], 2.0, -v[4:5]
	ds_write_b128 v8, v[0:3] offset:3520
	ds_write_b128 v8, v[4:7] offset:3696
.LBB0_16:
	s_or_b32 exec_lo, exec_lo, s1
	s_waitcnt lgkmcnt(0)
	s_barrier
	buffer_gl0_inv
	s_and_saveexec_b32 s0, vcc_lo
	s_cbranch_execz .LBB0_18
; %bb.17:
	v_mul_u32_u24_e32 v0, 10, v57
	v_add_nc_u32_e32 v111, 22, v86
	v_add_nc_u32_e32 v112, 44, v86
	;; [unrolled: 1-line block ×4, first 2 shown]
	v_lshlrev_b32_e32 v0, 4, v0
	v_add_nc_u32_e32 v115, 0x6e, v86
	v_mad_u64_u32 v[93:94], null, s2, v86, 0
	v_add_nc_u32_e32 v116, 0x84, v86
	s_clause 0x9
	global_load_dwordx4 v[12:15], v0, s[8:9] offset:224
	global_load_dwordx4 v[8:11], v0, s[8:9] offset:272
	;; [unrolled: 1-line block ×10, first 2 shown]
	v_mad_u64_u32 v[95:96], null, s2, v111, 0
	v_add_nc_u32_e32 v117, 0x9a, v86
	v_mad_u64_u32 v[97:98], null, s2, v112, 0
	v_mad_u64_u32 v[99:100], null, s2, v113, 0
	;; [unrolled: 1-line block ×6, first 2 shown]
	v_add3_u32 v82, 0, v54, v55
	ds_read_b128 v[60:63], v53
	ds_read_b128 v[52:55], v52
	ds_read_b128 v[64:67], v76 offset:2464
	ds_read_b128 v[56:59], v76 offset:2816
	;; [unrolled: 1-line block ×3, first 2 shown]
	ds_read_b128 v[0:3], v73
	ds_read_b128 v[24:27], v74
	;; [unrolled: 1-line block ×3, first 2 shown]
	ds_read_b128 v[28:31], v76 offset:3168
	ds_read_b128 v[76:79], v76 offset:3520
	v_add_nc_u32_e32 v118, 0xb0, v86
	v_add_nc_u32_e32 v119, 0xc6, v86
	;; [unrolled: 1-line block ×3, first 2 shown]
	v_add_co_u32 v87, vcc_lo, s12, v80
	v_mad_u64_u32 v[109:110], null, s3, v86, v[94:95]
	v_mov_b32_e32 v86, v96
	v_mov_b32_e32 v94, v98
	v_mov_b32_e32 v96, v100
	v_mov_b32_e32 v98, v102
	v_mov_b32_e32 v100, v104
	v_mov_b32_e32 v102, v106
	v_mad_u64_u32 v[110:111], null, s3, v111, v[86:87]
	v_mov_b32_e32 v104, v108
	v_mad_u64_u32 v[111:112], null, s3, v112, v[94:95]
	v_mad_u64_u32 v[112:113], null, s3, v113, v[96:97]
	;; [unrolled: 1-line block ×6, first 2 shown]
	v_mov_b32_e32 v102, v113
	ds_read_b128 v[89:92], v82
	v_mov_b32_e32 v104, v114
	v_add_co_ci_u32_e32 v88, vcc_lo, s13, v81, vcc_lo
	v_mov_b32_e32 v106, v115
	v_mov_b32_e32 v108, v116
	v_mad_u64_u32 v[80:81], null, s2, v118, 0
	v_mad_u64_u32 v[82:83], null, s2, v120, 0
	;; [unrolled: 1-line block ×3, first 2 shown]
	v_mov_b32_e32 v94, v109
	v_mov_b32_e32 v96, v110
	;; [unrolled: 1-line block ×4, first 2 shown]
	v_mad_u64_u32 v[117:118], null, s3, v118, v[81:82]
	v_mad_u64_u32 v[85:86], null, s3, v119, v[85:86]
	;; [unrolled: 1-line block ×3, first 2 shown]
	v_lshlrev_b64 v[93:94], 4, v[93:94]
	v_lshlrev_b64 v[95:96], 4, v[95:96]
	v_mov_b32_e32 v81, v117
	v_lshlrev_b64 v[97:98], 4, v[97:98]
	v_lshlrev_b64 v[99:100], 4, v[99:100]
	;; [unrolled: 1-line block ×3, first 2 shown]
	v_mov_b32_e32 v83, v118
	v_add_co_u32 v93, vcc_lo, v87, v93
	v_add_co_ci_u32_e32 v94, vcc_lo, v88, v94, vcc_lo
	v_add_co_u32 v95, vcc_lo, v87, v95
	v_add_co_ci_u32_e32 v96, vcc_lo, v88, v96, vcc_lo
	;; [unrolled: 2-line block ×3, first 2 shown]
	v_lshlrev_b64 v[103:104], 4, v[103:104]
	v_add_co_u32 v99, vcc_lo, v87, v99
	v_add_co_ci_u32_e32 v100, vcc_lo, v88, v100, vcc_lo
	v_lshlrev_b64 v[105:106], 4, v[105:106]
	v_add_co_u32 v101, vcc_lo, v87, v101
	v_add_co_ci_u32_e32 v102, vcc_lo, v88, v102, vcc_lo
	v_lshlrev_b64 v[107:108], 4, v[107:108]
	s_mov_b32 s20, 0xf8bb580b
	s_mov_b32 s15, 0x3fed1bb4
	;; [unrolled: 1-line block ×24, first 2 shown]
	v_lshlrev_b64 v[80:81], 4, v[80:81]
	v_lshlrev_b64 v[84:85], 4, v[84:85]
	v_lshlrev_b64 v[82:83], 4, v[82:83]
	s_waitcnt vmcnt(9) lgkmcnt(10)
	v_mul_f64 v[109:110], v[14:15], v[62:63]
	s_waitcnt vmcnt(8) lgkmcnt(8)
	v_mul_f64 v[111:112], v[10:11], v[66:67]
	;; [unrolled: 2-line block ×4, first 2 shown]
	v_mul_f64 v[22:23], v[72:73], v[22:23]
	v_mul_f64 v[50:51], v[76:77], v[50:51]
	;; [unrolled: 1-line block ×4, first 2 shown]
	s_waitcnt vmcnt(5) lgkmcnt(0)
	v_mul_f64 v[117:118], v[46:47], v[91:92]
	s_waitcnt vmcnt(4)
	v_mul_f64 v[119:120], v[42:43], v[70:71]
	v_mul_f64 v[46:47], v[89:90], v[46:47]
	s_waitcnt vmcnt(2)
	v_mul_f64 v[123:124], v[34:35], v[58:59]
	;; [unrolled: 3-line block ×3, first 2 shown]
	s_waitcnt vmcnt(0)
	v_mul_f64 v[127:128], v[18:19], v[30:31]
	v_mul_f64 v[6:7], v[24:25], v[6:7]
	;; [unrolled: 1-line block ×6, first 2 shown]
	v_fma_f64 v[60:61], v[12:13], v[60:61], v[109:110]
	v_fma_f64 v[64:65], v[8:9], v[64:65], v[111:112]
	v_fma_f64 v[72:73], v[20:21], v[72:73], v[113:114]
	v_fma_f64 v[76:77], v[48:49], v[76:77], v[115:116]
	v_fma_f64 v[20:21], v[20:21], v[74:75], -v[22:23]
	v_fma_f64 v[48:49], v[48:49], v[78:79], -v[50:51]
	v_fma_f64 v[12:13], v[12:13], v[62:63], -v[14:15]
	v_fma_f64 v[8:9], v[8:9], v[66:67], -v[10:11]
	v_fma_f64 v[10:11], v[44:45], v[89:90], v[117:118]
	v_fma_f64 v[14:15], v[40:41], v[68:69], v[119:120]
	v_fma_f64 v[22:23], v[44:45], v[91:92], -v[46:47]
	v_fma_f64 v[44:45], v[32:33], v[56:57], v[123:124]
	v_fma_f64 v[32:33], v[32:33], v[58:59], -v[34:35]
	v_fma_f64 v[24:25], v[4:5], v[24:25], v[125:126]
	v_fma_f64 v[28:29], v[16:17], v[28:29], v[127:128]
	v_fma_f64 v[4:5], v[4:5], v[26:27], -v[6:7]
	v_fma_f64 v[6:7], v[16:17], v[30:31], -v[18:19]
	v_add_co_u32 v46, vcc_lo, v87, v103
	v_add_co_ci_u32_e32 v47, vcc_lo, v88, v104, vcc_lo
	v_add_co_u32 v50, vcc_lo, v87, v105
	v_fma_f64 v[40:41], v[40:41], v[70:71], -v[42:43]
	v_add_f64 v[68:69], v[72:73], v[0:1]
	v_fma_f64 v[42:43], v[36:37], v[52:53], v[121:122]
	v_fma_f64 v[36:37], v[36:37], v[54:55], -v[38:39]
	v_add_f64 v[18:19], v[20:21], -v[48:49]
	v_add_f64 v[58:59], v[20:21], v[48:49]
	v_add_f64 v[20:21], v[2:3], v[20:21]
	v_add_co_ci_u32_e32 v51, vcc_lo, v88, v106, vcc_lo
	v_add_f64 v[16:17], v[72:73], -v[76:77]
	v_add_f64 v[26:27], v[60:61], -v[64:65]
	;; [unrolled: 1-line block ×5, first 2 shown]
	v_add_f64 v[105:106], v[24:25], v[28:29]
	v_add_f64 v[91:92], v[4:5], v[6:7]
	v_add_f64 v[103:104], v[4:5], -v[6:7]
	v_add_co_u32 v52, vcc_lo, v87, v107
	v_add_f64 v[62:63], v[72:73], v[76:77]
	v_add_co_ci_u32_e32 v53, vcc_lo, v88, v108, vcc_lo
	v_add_f64 v[38:39], v[22:23], -v[40:41]
	v_add_f64 v[24:25], v[24:25], v[68:69]
	v_add_f64 v[54:55], v[42:43], -v[44:45]
	v_add_f64 v[56:57], v[36:37], -v[32:33]
	v_mul_f64 v[111:112], v[18:19], s[22:23]
	v_mul_f64 v[119:120], v[18:19], s[18:19]
	v_add_f64 v[4:5], v[4:5], v[20:21]
	v_mul_f64 v[135:136], v[18:19], s[24:25]
	v_add_f64 v[107:108], v[42:43], v[44:45]
	v_mul_f64 v[133:134], v[16:17], s[24:25]
	v_mul_f64 v[113:114], v[26:27], s[14:15]
	;; [unrolled: 1-line block ×8, first 2 shown]
	v_add_f64 v[74:75], v[10:11], v[14:15]
	v_mul_f64 v[165:166], v[89:90], s[20:21]
	v_mul_f64 v[167:168], v[89:90], s[26:27]
	;; [unrolled: 1-line block ×5, first 2 shown]
	v_add_f64 v[24:25], v[42:43], v[24:25]
	v_mul_f64 v[129:130], v[54:55], s[14:15]
	v_mul_f64 v[131:132], v[56:57], s[14:15]
	s_mov_b32 s15, 0xbfed1bb4
	v_mul_f64 v[179:180], v[56:57], s[18:19]
	v_add_f64 v[4:5], v[36:37], v[4:5]
	v_mul_f64 v[181:182], v[56:57], s[24:25]
	v_mul_f64 v[183:184], v[56:57], s[28:29]
	;; [unrolled: 1-line block ×6, first 2 shown]
	v_fma_f64 v[197:198], v[58:59], s[8:9], v[133:134]
	v_fma_f64 v[133:134], v[58:59], s[8:9], -v[133:134]
	v_add_f64 v[66:67], v[22:23], v[40:41]
	v_add_f64 v[70:71], v[12:13], v[8:9]
	;; [unrolled: 1-line block ×4, first 2 shown]
	v_mul_f64 v[137:138], v[34:35], s[16:17]
	v_mul_f64 v[139:140], v[34:35], s[18:19]
	;; [unrolled: 1-line block ×4, first 2 shown]
	v_add_f64 v[24:25], v[60:61], v[24:25]
	v_mul_f64 v[143:144], v[26:27], s[22:23]
	v_mul_f64 v[145:146], v[26:27], s[24:25]
	;; [unrolled: 1-line block ×4, first 2 shown]
	v_add_f64 v[4:5], v[12:13], v[4:5]
	v_mul_f64 v[149:150], v[54:55], s[18:19]
	v_mul_f64 v[151:152], v[54:55], s[24:25]
	;; [unrolled: 1-line block ×16, first 2 shown]
	v_add_f64 v[10:11], v[10:11], v[24:25]
	v_mul_f64 v[103:104], v[103:104], s[14:15]
	v_fma_f64 v[185:186], v[58:59], s[10:11], v[109:110]
	v_fma_f64 v[187:188], v[62:63], s[10:11], -v[111:112]
	v_fma_f64 v[109:110], v[58:59], s[10:11], -v[109:110]
	v_add_f64 v[4:5], v[22:23], v[4:5]
	v_fma_f64 v[191:192], v[62:63], s[6:7], -v[119:120]
	v_fma_f64 v[119:120], v[62:63], s[6:7], v[119:120]
	v_fma_f64 v[199:200], v[62:63], s[8:9], -v[135:136]
	v_fma_f64 v[135:136], v[62:63], s[8:9], v[135:136]
	v_fma_f64 v[111:112], v[62:63], s[10:11], v[111:112]
	;; [unrolled: 1-line block ×3, first 2 shown]
	v_fma_f64 v[117:118], v[58:59], s[6:7], -v[117:118]
	v_fma_f64 v[193:194], v[58:59], s[4:5], v[125:126]
	v_fma_f64 v[125:126], v[58:59], s[4:5], -v[125:126]
	v_fma_f64 v[243:244], v[107:108], s[6:7], -v[179:180]
	v_fma_f64 v[179:180], v[107:108], s[6:7], v[179:180]
	v_fma_f64 v[245:246], v[107:108], s[8:9], -v[181:182]
	v_fma_f64 v[181:182], v[107:108], s[8:9], v[181:182]
	;; [unrolled: 2-line block ×5, first 2 shown]
	v_fma_f64 v[107:108], v[58:59], s[0:1], v[16:17]
	v_fma_f64 v[16:17], v[58:59], s[0:1], -v[16:17]
	v_fma_f64 v[58:59], v[62:63], s[0:1], -v[18:19]
	v_fma_f64 v[18:19], v[62:63], s[0:1], v[18:19]
	v_fma_f64 v[195:196], v[62:63], s[4:5], -v[127:128]
	v_fma_f64 v[127:128], v[62:63], s[4:5], v[127:128]
	v_fma_f64 v[24:25], v[91:92], s[0:1], v[89:90]
	v_fma_f64 v[89:90], v[91:92], s[0:1], -v[89:90]
	v_add_f64 v[133:134], v[2:3], v[133:134]
	v_add_f64 v[4:5], v[40:41], v[4:5]
	;; [unrolled: 1-line block ×3, first 2 shown]
	v_fma_f64 v[201:202], v[66:67], s[4:5], v[137:138]
	v_fma_f64 v[137:138], v[66:67], s[4:5], -v[137:138]
	v_fma_f64 v[203:204], v[66:67], s[0:1], v[121:122]
	v_fma_f64 v[121:122], v[66:67], s[0:1], -v[121:122]
	;; [unrolled: 2-line block ×15, first 2 shown]
	v_fma_f64 v[72:73], v[74:75], s[4:5], -v[155:156]
	v_fma_f64 v[155:156], v[74:75], s[4:5], v[155:156]
	v_fma_f64 v[227:228], v[74:75], s[0:1], -v[123:124]
	v_fma_f64 v[123:124], v[74:75], s[0:1], v[123:124]
	;; [unrolled: 2-line block ×10, first 2 shown]
	v_fma_f64 v[78:79], v[91:92], s[8:9], v[165:166]
	v_fma_f64 v[165:166], v[91:92], s[8:9], -v[165:166]
	v_fma_f64 v[239:240], v[91:92], s[4:5], v[167:168]
	v_fma_f64 v[167:168], v[91:92], s[4:5], -v[167:168]
	;; [unrolled: 2-line block ×4, first 2 shown]
	v_fma_f64 v[60:61], v[105:106], s[8:9], -v[68:69]
	v_fma_f64 v[68:69], v[105:106], s[8:9], v[68:69]
	v_fma_f64 v[62:63], v[105:106], s[4:5], -v[173:174]
	v_fma_f64 v[173:174], v[105:106], s[4:5], v[173:174]
	;; [unrolled: 2-line block ×5, first 2 shown]
	v_add_f64 v[105:106], v[2:3], v[185:186]
	v_add_f64 v[185:186], v[0:1], v[187:188]
	;; [unrolled: 1-line block ×107, first 2 shown]
	v_add_co_u32 v44, vcc_lo, v87, v80
	v_add_co_ci_u32_e32 v45, vcc_lo, v88, v81, vcc_lo
	v_add_co_u32 v48, vcc_lo, v87, v84
	v_add_co_ci_u32_e32 v49, vcc_lo, v88, v85, vcc_lo
	;; [unrolled: 2-line block ×3, first 2 shown]
	global_store_dwordx4 v[93:94], v[24:27], off
	global_store_dwordx4 v[95:96], v[20:23], off
	;; [unrolled: 1-line block ×11, first 2 shown]
.LBB0_18:
	s_endpgm
	.section	.rodata,"a",@progbits
	.p2align	6, 0x0
	.amdhsa_kernel fft_rtc_back_len242_factors_11_2_11_wgs_110_tpt_22_dp_ip_CI_sbrr_dirReg
		.amdhsa_group_segment_fixed_size 0
		.amdhsa_private_segment_fixed_size 0
		.amdhsa_kernarg_size 88
		.amdhsa_user_sgpr_count 6
		.amdhsa_user_sgpr_private_segment_buffer 1
		.amdhsa_user_sgpr_dispatch_ptr 0
		.amdhsa_user_sgpr_queue_ptr 0
		.amdhsa_user_sgpr_kernarg_segment_ptr 1
		.amdhsa_user_sgpr_dispatch_id 0
		.amdhsa_user_sgpr_flat_scratch_init 0
		.amdhsa_user_sgpr_private_segment_size 0
		.amdhsa_wavefront_size32 1
		.amdhsa_uses_dynamic_stack 0
		.amdhsa_system_sgpr_private_segment_wavefront_offset 0
		.amdhsa_system_sgpr_workgroup_id_x 1
		.amdhsa_system_sgpr_workgroup_id_y 0
		.amdhsa_system_sgpr_workgroup_id_z 0
		.amdhsa_system_sgpr_workgroup_info 0
		.amdhsa_system_vgpr_workitem_id 0
		.amdhsa_next_free_vgpr 255
		.amdhsa_next_free_sgpr 32
		.amdhsa_reserve_vcc 1
		.amdhsa_reserve_flat_scratch 0
		.amdhsa_float_round_mode_32 0
		.amdhsa_float_round_mode_16_64 0
		.amdhsa_float_denorm_mode_32 3
		.amdhsa_float_denorm_mode_16_64 3
		.amdhsa_dx10_clamp 1
		.amdhsa_ieee_mode 1
		.amdhsa_fp16_overflow 0
		.amdhsa_workgroup_processor_mode 1
		.amdhsa_memory_ordered 1
		.amdhsa_forward_progress 0
		.amdhsa_shared_vgpr_count 0
		.amdhsa_exception_fp_ieee_invalid_op 0
		.amdhsa_exception_fp_denorm_src 0
		.amdhsa_exception_fp_ieee_div_zero 0
		.amdhsa_exception_fp_ieee_overflow 0
		.amdhsa_exception_fp_ieee_underflow 0
		.amdhsa_exception_fp_ieee_inexact 0
		.amdhsa_exception_int_div_zero 0
	.end_amdhsa_kernel
	.text
.Lfunc_end0:
	.size	fft_rtc_back_len242_factors_11_2_11_wgs_110_tpt_22_dp_ip_CI_sbrr_dirReg, .Lfunc_end0-fft_rtc_back_len242_factors_11_2_11_wgs_110_tpt_22_dp_ip_CI_sbrr_dirReg
                                        ; -- End function
	.section	.AMDGPU.csdata,"",@progbits
; Kernel info:
; codeLenInByte = 9748
; NumSgprs: 34
; NumVgprs: 255
; ScratchSize: 0
; MemoryBound: 1
; FloatMode: 240
; IeeeMode: 1
; LDSByteSize: 0 bytes/workgroup (compile time only)
; SGPRBlocks: 4
; VGPRBlocks: 31
; NumSGPRsForWavesPerEU: 34
; NumVGPRsForWavesPerEU: 255
; Occupancy: 4
; WaveLimiterHint : 1
; COMPUTE_PGM_RSRC2:SCRATCH_EN: 0
; COMPUTE_PGM_RSRC2:USER_SGPR: 6
; COMPUTE_PGM_RSRC2:TRAP_HANDLER: 0
; COMPUTE_PGM_RSRC2:TGID_X_EN: 1
; COMPUTE_PGM_RSRC2:TGID_Y_EN: 0
; COMPUTE_PGM_RSRC2:TGID_Z_EN: 0
; COMPUTE_PGM_RSRC2:TIDIG_COMP_CNT: 0
	.text
	.p2alignl 6, 3214868480
	.fill 48, 4, 3214868480
	.type	__hip_cuid_d1c8df9400656417,@object ; @__hip_cuid_d1c8df9400656417
	.section	.bss,"aw",@nobits
	.globl	__hip_cuid_d1c8df9400656417
__hip_cuid_d1c8df9400656417:
	.byte	0                               ; 0x0
	.size	__hip_cuid_d1c8df9400656417, 1

	.ident	"AMD clang version 19.0.0git (https://github.com/RadeonOpenCompute/llvm-project roc-6.4.0 25133 c7fe45cf4b819c5991fe208aaa96edf142730f1d)"
	.section	".note.GNU-stack","",@progbits
	.addrsig
	.addrsig_sym __hip_cuid_d1c8df9400656417
	.amdgpu_metadata
---
amdhsa.kernels:
  - .args:
      - .actual_access:  read_only
        .address_space:  global
        .offset:         0
        .size:           8
        .value_kind:     global_buffer
      - .offset:         8
        .size:           8
        .value_kind:     by_value
      - .actual_access:  read_only
        .address_space:  global
        .offset:         16
        .size:           8
        .value_kind:     global_buffer
      - .actual_access:  read_only
        .address_space:  global
        .offset:         24
        .size:           8
        .value_kind:     global_buffer
      - .offset:         32
        .size:           8
        .value_kind:     by_value
      - .actual_access:  read_only
        .address_space:  global
        .offset:         40
        .size:           8
        .value_kind:     global_buffer
      - .actual_access:  read_only
        .address_space:  global
        .offset:         48
        .size:           8
        .value_kind:     global_buffer
      - .offset:         56
        .size:           4
        .value_kind:     by_value
      - .actual_access:  read_only
        .address_space:  global
        .offset:         64
        .size:           8
        .value_kind:     global_buffer
      - .actual_access:  read_only
        .address_space:  global
        .offset:         72
        .size:           8
        .value_kind:     global_buffer
      - .address_space:  global
        .offset:         80
        .size:           8
        .value_kind:     global_buffer
    .group_segment_fixed_size: 0
    .kernarg_segment_align: 8
    .kernarg_segment_size: 88
    .language:       OpenCL C
    .language_version:
      - 2
      - 0
    .max_flat_workgroup_size: 110
    .name:           fft_rtc_back_len242_factors_11_2_11_wgs_110_tpt_22_dp_ip_CI_sbrr_dirReg
    .private_segment_fixed_size: 0
    .sgpr_count:     34
    .sgpr_spill_count: 0
    .symbol:         fft_rtc_back_len242_factors_11_2_11_wgs_110_tpt_22_dp_ip_CI_sbrr_dirReg.kd
    .uniform_work_group_size: 1
    .uses_dynamic_stack: false
    .vgpr_count:     255
    .vgpr_spill_count: 0
    .wavefront_size: 32
    .workgroup_processor_mode: 1
amdhsa.target:   amdgcn-amd-amdhsa--gfx1030
amdhsa.version:
  - 1
  - 2
...

	.end_amdgpu_metadata
